;; amdgpu-corpus repo=ROCm/rocFFT kind=compiled arch=gfx906 opt=O3
	.text
	.amdgcn_target "amdgcn-amd-amdhsa--gfx906"
	.amdhsa_code_object_version 6
	.protected	fft_rtc_fwd_len980_factors_7_5_7_4_wgs_196_tpt_196_half_op_CI_CI_unitstride_sbrr_dirReg ; -- Begin function fft_rtc_fwd_len980_factors_7_5_7_4_wgs_196_tpt_196_half_op_CI_CI_unitstride_sbrr_dirReg
	.globl	fft_rtc_fwd_len980_factors_7_5_7_4_wgs_196_tpt_196_half_op_CI_CI_unitstride_sbrr_dirReg
	.p2align	8
	.type	fft_rtc_fwd_len980_factors_7_5_7_4_wgs_196_tpt_196_half_op_CI_CI_unitstride_sbrr_dirReg,@function
fft_rtc_fwd_len980_factors_7_5_7_4_wgs_196_tpt_196_half_op_CI_CI_unitstride_sbrr_dirReg: ; @fft_rtc_fwd_len980_factors_7_5_7_4_wgs_196_tpt_196_half_op_CI_CI_unitstride_sbrr_dirReg
; %bb.0:
	s_load_dwordx4 s[8:11], s[4:5], 0x58
	s_load_dwordx4 s[12:15], s[4:5], 0x0
	;; [unrolled: 1-line block ×3, first 2 shown]
	v_mul_u32_u24_e32 v1, 0x14f, v0
	v_mov_b32_e32 v8, 0
	v_mov_b32_e32 v6, 0
	s_waitcnt lgkmcnt(0)
	v_cmp_lt_u64_e64 s[0:1], s[14:15], 2
	v_add_u32_sdwa v10, s6, v1 dst_sel:DWORD dst_unused:UNUSED_PAD src0_sel:DWORD src1_sel:WORD_1
	v_mov_b32_e32 v11, v8
	s_and_b64 vcc, exec, s[0:1]
	v_mov_b32_e32 v7, 0
	s_cbranch_vccnz .LBB0_8
; %bb.1:
	s_load_dwordx2 s[0:1], s[4:5], 0x10
	s_add_u32 s2, s18, 8
	s_addc_u32 s3, s19, 0
	s_add_u32 s6, s16, 8
	s_addc_u32 s7, s17, 0
	v_mov_b32_e32 v6, 0
	s_waitcnt lgkmcnt(0)
	s_add_u32 s20, s0, 8
	v_mov_b32_e32 v7, 0
	v_mov_b32_e32 v1, v6
	s_addc_u32 s21, s1, 0
	s_mov_b64 s[22:23], 1
	v_mov_b32_e32 v2, v7
.LBB0_2:                                ; =>This Inner Loop Header: Depth=1
	s_load_dwordx2 s[24:25], s[20:21], 0x0
                                        ; implicit-def: $vgpr3_vgpr4
	s_waitcnt lgkmcnt(0)
	v_or_b32_e32 v9, s25, v11
	v_cmp_ne_u64_e32 vcc, 0, v[8:9]
	s_and_saveexec_b64 s[0:1], vcc
	s_xor_b64 s[26:27], exec, s[0:1]
	s_cbranch_execz .LBB0_4
; %bb.3:                                ;   in Loop: Header=BB0_2 Depth=1
	v_cvt_f32_u32_e32 v3, s24
	v_cvt_f32_u32_e32 v4, s25
	s_sub_u32 s0, 0, s24
	s_subb_u32 s1, 0, s25
	v_mac_f32_e32 v3, 0x4f800000, v4
	v_rcp_f32_e32 v3, v3
	v_mul_f32_e32 v3, 0x5f7ffffc, v3
	v_mul_f32_e32 v4, 0x2f800000, v3
	v_trunc_f32_e32 v4, v4
	v_mac_f32_e32 v3, 0xcf800000, v4
	v_cvt_u32_f32_e32 v4, v4
	v_cvt_u32_f32_e32 v3, v3
	v_mul_lo_u32 v5, s0, v4
	v_mul_hi_u32 v9, s0, v3
	v_mul_lo_u32 v13, s1, v3
	v_mul_lo_u32 v12, s0, v3
	v_add_u32_e32 v5, v9, v5
	v_add_u32_e32 v5, v5, v13
	v_mul_hi_u32 v9, v3, v12
	v_mul_lo_u32 v13, v3, v5
	v_mul_hi_u32 v15, v3, v5
	v_mul_hi_u32 v14, v4, v12
	v_mul_lo_u32 v12, v4, v12
	v_mul_hi_u32 v16, v4, v5
	v_add_co_u32_e32 v9, vcc, v9, v13
	v_addc_co_u32_e32 v13, vcc, 0, v15, vcc
	v_mul_lo_u32 v5, v4, v5
	v_add_co_u32_e32 v9, vcc, v9, v12
	v_addc_co_u32_e32 v9, vcc, v13, v14, vcc
	v_addc_co_u32_e32 v12, vcc, 0, v16, vcc
	v_add_co_u32_e32 v5, vcc, v9, v5
	v_addc_co_u32_e32 v9, vcc, 0, v12, vcc
	v_add_co_u32_e32 v3, vcc, v3, v5
	v_addc_co_u32_e32 v4, vcc, v4, v9, vcc
	v_mul_lo_u32 v5, s0, v4
	v_mul_hi_u32 v9, s0, v3
	v_mul_lo_u32 v12, s1, v3
	v_mul_lo_u32 v13, s0, v3
	v_add_u32_e32 v5, v9, v5
	v_add_u32_e32 v5, v5, v12
	v_mul_lo_u32 v14, v3, v5
	v_mul_hi_u32 v15, v3, v13
	v_mul_hi_u32 v16, v3, v5
	v_mul_hi_u32 v12, v4, v13
	v_mul_lo_u32 v13, v4, v13
	v_mul_hi_u32 v9, v4, v5
	v_add_co_u32_e32 v14, vcc, v15, v14
	v_addc_co_u32_e32 v15, vcc, 0, v16, vcc
	v_mul_lo_u32 v5, v4, v5
	v_add_co_u32_e32 v13, vcc, v14, v13
	v_addc_co_u32_e32 v12, vcc, v15, v12, vcc
	v_addc_co_u32_e32 v9, vcc, 0, v9, vcc
	v_add_co_u32_e32 v5, vcc, v12, v5
	v_addc_co_u32_e32 v9, vcc, 0, v9, vcc
	v_add_co_u32_e32 v5, vcc, v3, v5
	v_addc_co_u32_e32 v9, vcc, v4, v9, vcc
	v_mad_u64_u32 v[3:4], s[0:1], v10, v9, 0
	v_mul_hi_u32 v12, v10, v5
	v_add_co_u32_e32 v14, vcc, v12, v3
	v_addc_co_u32_e32 v15, vcc, 0, v4, vcc
	v_mad_u64_u32 v[3:4], s[0:1], v11, v5, 0
	v_mad_u64_u32 v[12:13], s[0:1], v11, v9, 0
	v_add_co_u32_e32 v3, vcc, v14, v3
	v_addc_co_u32_e32 v3, vcc, v15, v4, vcc
	v_addc_co_u32_e32 v4, vcc, 0, v13, vcc
	v_add_co_u32_e32 v5, vcc, v3, v12
	v_addc_co_u32_e32 v9, vcc, 0, v4, vcc
	v_mul_lo_u32 v12, s25, v5
	v_mul_lo_u32 v13, s24, v9
	v_mad_u64_u32 v[3:4], s[0:1], s24, v5, 0
	v_add3_u32 v4, v4, v13, v12
	v_sub_u32_e32 v12, v11, v4
	v_mov_b32_e32 v13, s25
	v_sub_co_u32_e32 v3, vcc, v10, v3
	v_subb_co_u32_e64 v12, s[0:1], v12, v13, vcc
	v_subrev_co_u32_e64 v13, s[0:1], s24, v3
	v_subbrev_co_u32_e64 v12, s[0:1], 0, v12, s[0:1]
	v_cmp_le_u32_e64 s[0:1], s25, v12
	v_cndmask_b32_e64 v14, 0, -1, s[0:1]
	v_cmp_le_u32_e64 s[0:1], s24, v13
	v_cndmask_b32_e64 v13, 0, -1, s[0:1]
	v_cmp_eq_u32_e64 s[0:1], s25, v12
	v_cndmask_b32_e64 v12, v14, v13, s[0:1]
	v_add_co_u32_e64 v13, s[0:1], 2, v5
	v_addc_co_u32_e64 v14, s[0:1], 0, v9, s[0:1]
	v_add_co_u32_e64 v15, s[0:1], 1, v5
	v_addc_co_u32_e64 v16, s[0:1], 0, v9, s[0:1]
	v_subb_co_u32_e32 v4, vcc, v11, v4, vcc
	v_cmp_ne_u32_e64 s[0:1], 0, v12
	v_cmp_le_u32_e32 vcc, s25, v4
	v_cndmask_b32_e64 v12, v16, v14, s[0:1]
	v_cndmask_b32_e64 v14, 0, -1, vcc
	v_cmp_le_u32_e32 vcc, s24, v3
	v_cndmask_b32_e64 v3, 0, -1, vcc
	v_cmp_eq_u32_e32 vcc, s25, v4
	v_cndmask_b32_e32 v3, v14, v3, vcc
	v_cmp_ne_u32_e32 vcc, 0, v3
	v_cndmask_b32_e64 v3, v15, v13, s[0:1]
	v_cndmask_b32_e32 v4, v9, v12, vcc
	v_cndmask_b32_e32 v3, v5, v3, vcc
.LBB0_4:                                ;   in Loop: Header=BB0_2 Depth=1
	s_andn2_saveexec_b64 s[0:1], s[26:27]
	s_cbranch_execz .LBB0_6
; %bb.5:                                ;   in Loop: Header=BB0_2 Depth=1
	v_cvt_f32_u32_e32 v3, s24
	s_sub_i32 s26, 0, s24
	v_rcp_iflag_f32_e32 v3, v3
	v_mul_f32_e32 v3, 0x4f7ffffe, v3
	v_cvt_u32_f32_e32 v3, v3
	v_mul_lo_u32 v4, s26, v3
	v_mul_hi_u32 v4, v3, v4
	v_add_u32_e32 v3, v3, v4
	v_mul_hi_u32 v3, v10, v3
	v_mul_lo_u32 v4, v3, s24
	v_add_u32_e32 v5, 1, v3
	v_sub_u32_e32 v4, v10, v4
	v_subrev_u32_e32 v9, s24, v4
	v_cmp_le_u32_e32 vcc, s24, v4
	v_cndmask_b32_e32 v4, v4, v9, vcc
	v_cndmask_b32_e32 v3, v3, v5, vcc
	v_add_u32_e32 v5, 1, v3
	v_cmp_le_u32_e32 vcc, s24, v4
	v_cndmask_b32_e32 v3, v3, v5, vcc
	v_mov_b32_e32 v4, v8
.LBB0_6:                                ;   in Loop: Header=BB0_2 Depth=1
	s_or_b64 exec, exec, s[0:1]
	v_mul_lo_u32 v5, v4, s24
	v_mul_lo_u32 v9, v3, s25
	v_mad_u64_u32 v[12:13], s[0:1], v3, s24, 0
	s_load_dwordx2 s[0:1], s[6:7], 0x0
	s_load_dwordx2 s[24:25], s[2:3], 0x0
	v_add3_u32 v5, v13, v9, v5
	v_sub_co_u32_e32 v9, vcc, v10, v12
	v_subb_co_u32_e32 v5, vcc, v11, v5, vcc
	s_waitcnt lgkmcnt(0)
	v_mul_lo_u32 v10, s0, v5
	v_mul_lo_u32 v11, s1, v9
	v_mad_u64_u32 v[6:7], s[0:1], s0, v9, v[6:7]
	s_add_u32 s22, s22, 1
	s_addc_u32 s23, s23, 0
	s_add_u32 s2, s2, 8
	v_mul_lo_u32 v5, s24, v5
	v_mul_lo_u32 v12, s25, v9
	v_mad_u64_u32 v[1:2], s[0:1], s24, v9, v[1:2]
	v_add3_u32 v7, v11, v7, v10
	s_addc_u32 s3, s3, 0
	v_mov_b32_e32 v9, s14
	s_add_u32 s6, s6, 8
	v_mov_b32_e32 v10, s15
	s_addc_u32 s7, s7, 0
	v_cmp_ge_u64_e32 vcc, s[22:23], v[9:10]
	s_add_u32 s20, s20, 8
	v_add3_u32 v2, v12, v2, v5
	s_addc_u32 s21, s21, 0
	s_cbranch_vccnz .LBB0_9
; %bb.7:                                ;   in Loop: Header=BB0_2 Depth=1
	v_mov_b32_e32 v11, v4
	v_mov_b32_e32 v10, v3
	s_branch .LBB0_2
.LBB0_8:
	v_mov_b32_e32 v1, v6
	v_mov_b32_e32 v3, v10
	;; [unrolled: 1-line block ×4, first 2 shown]
.LBB0_9:
	s_load_dwordx2 s[0:1], s[4:5], 0x28
	s_lshl_b64 s[6:7], s[14:15], 3
	s_add_u32 s2, s18, s6
	s_addc_u32 s3, s19, s7
                                        ; implicit-def: $vgpr5
	s_waitcnt lgkmcnt(0)
	v_cmp_gt_u64_e32 vcc, s[0:1], v[3:4]
	v_cmp_le_u64_e64 s[0:1], s[0:1], v[3:4]
	s_and_saveexec_b64 s[4:5], s[0:1]
	s_xor_b64 s[0:1], exec, s[4:5]
; %bb.10:
	s_mov_b32 s4, 0x14e5e0b
	v_mul_hi_u32 v5, v0, s4
                                        ; implicit-def: $vgpr6_vgpr7
	v_mul_u32_u24_e32 v5, 0xc4, v5
	v_sub_u32_e32 v5, v0, v5
                                        ; implicit-def: $vgpr0
; %bb.11:
	s_andn2_saveexec_b64 s[4:5], s[0:1]
	s_cbranch_execz .LBB0_13
; %bb.12:
	s_add_u32 s0, s16, s6
	s_addc_u32 s1, s17, s7
	s_load_dwordx2 s[0:1], s[0:1], 0x0
	s_mov_b32 s6, 0x14e5e0b
	v_mul_hi_u32 v5, v0, s6
	v_lshlrev_b64 v[6:7], 2, v[6:7]
	s_waitcnt lgkmcnt(0)
	v_mul_lo_u32 v10, s1, v3
	v_mul_lo_u32 v11, s0, v4
	v_mad_u64_u32 v[8:9], s[0:1], s0, v3, 0
	v_mul_u32_u24_e32 v5, 0xc4, v5
	v_sub_u32_e32 v5, v0, v5
	v_add3_u32 v9, v9, v11, v10
	v_lshlrev_b64 v[8:9], 2, v[8:9]
	v_mov_b32_e32 v0, s9
	v_add_co_u32_e64 v8, s[0:1], s8, v8
	v_addc_co_u32_e64 v0, s[0:1], v0, v9, s[0:1]
	v_add_co_u32_e64 v6, s[0:1], v8, v6
	v_addc_co_u32_e64 v0, s[0:1], v0, v7, s[0:1]
	v_lshlrev_b32_e32 v8, 2, v5
	v_add_co_u32_e64 v6, s[0:1], v6, v8
	v_addc_co_u32_e64 v7, s[0:1], 0, v0, s[0:1]
	global_load_dword v0, v[6:7], off
	global_load_dword v9, v[6:7], off offset:784
	global_load_dword v10, v[6:7], off offset:1568
	;; [unrolled: 1-line block ×4, first 2 shown]
	v_add_u32_e32 v6, 0, v8
	v_add_u32_e32 v7, 0x600, v6
	s_waitcnt vmcnt(3)
	ds_write2_b32 v6, v0, v9 offset1:196
	s_waitcnt vmcnt(1)
	ds_write2_b32 v7, v10, v11 offset0:8 offset1:204
	s_waitcnt vmcnt(0)
	ds_write_b32 v6, v12 offset:3136
.LBB0_13:
	s_or_b64 exec, exec, s[4:5]
	v_lshl_add_u32 v0, v5, 2, 0
	v_add_u32_e32 v8, 0x400, v0
	v_add_u32_e32 v10, 0x800, v0
	s_waitcnt lgkmcnt(0)
	s_barrier
	ds_read2_b32 v[6:7], v0 offset1:140
	ds_read2_b32 v[8:9], v8 offset0:24 offset1:164
	ds_read_b32 v12, v0 offset:3360
	ds_read2_b32 v[10:11], v10 offset0:48 offset1:188
	s_movk_i32 s0, 0x3a52
	s_movk_i32 s1, 0x3b00
	;; [unrolled: 1-line block ×3, first 2 shown]
	s_waitcnt lgkmcnt(1)
	v_pk_add_f16 v13, v7, v12
	s_waitcnt lgkmcnt(0)
	v_pk_add_f16 v14, v8, v11
	v_pk_add_f16 v15, v9, v10
	;; [unrolled: 1-line block ×3, first 2 shown]
	v_pk_add_f16 v7, v7, v12 neg_lo:[0,1] neg_hi:[0,1]
	v_pk_add_f16 v12, v8, v11 neg_lo:[0,1] neg_hi:[0,1]
	;; [unrolled: 1-line block ×4, first 2 shown]
	v_pk_add_f16 v16, v15, v16
	v_pk_add_f16 v8, v14, v13 neg_lo:[0,1] neg_hi:[0,1]
	v_pk_add_f16 v11, v9, v12
	v_pk_add_f16 v17, v12, v7 neg_lo:[0,1] neg_hi:[0,1]
	v_pk_mul_f16 v18, v10, s0 op_sel_hi:[1,0]
	s_movk_i32 s0, 0x39e0
	v_pk_add_f16 v6, v6, v16
	v_pk_add_f16 v13, v7, v9 neg_lo:[0,1] neg_hi:[0,1]
	v_pk_add_f16 v11, v11, v7
	v_pk_mul_f16 v7, v8, s0 op_sel_hi:[1,0]
	v_pk_mul_f16 v10, v17, s1 op_sel_hi:[1,0]
	s_mov_b32 s1, 0xbcab
	s_movk_i32 s0, 0x3574
	v_pk_fma_f16 v8, v16, s1, v6 op_sel_hi:[1,0,1]
	v_pk_add_f16 v16, v18, v7 op_sel:[1,1] op_sel_hi:[0,0] neg_lo:[1,1] neg_hi:[1,1]
	v_pk_mul_f16 v19, v13, s0 op_sel_hi:[1,0]
	v_pk_add_f16 v17, v16, v8 op_sel:[0,1] op_sel_hi:[1,0]
	v_pk_add_f16 v14, v15, v14 neg_lo:[0,1] neg_hi:[0,1]
	v_pk_add_f16 v16, v9, v12 neg_lo:[0,1] neg_hi:[0,1]
	s_mov_b32 s8, 0xb846
	s_movk_i32 s6, 0x370e
	v_pk_fma_f16 v13, v13, s0, v10 op_sel_hi:[1,0,1] neg_lo:[1,0,1] neg_hi:[1,0,1]
	v_pk_fma_f16 v9, v14, s7, v18 op_sel_hi:[1,0,1]
	v_pk_fma_f16 v12, v16, s8, v19 op_sel_hi:[1,0,1]
	v_pk_add_f16 v15, v9, v8
	v_pk_fma_f16 v18, v11, s6, v12 op_sel_hi:[1,0,1]
	v_pk_fma_f16 v12, v11, s6, v13 op_sel_hi:[1,0,1]
	s_movk_i32 s0, 0x8c
	v_pk_add_f16 v9, v17, v12 neg_lo:[0,1] neg_hi:[0,1]
	v_pk_add_f16 v13, v17, v12
	v_pk_add_f16 v12, v15, v18 op_sel:[0,1] op_sel_hi:[1,0] neg_lo:[0,1] neg_hi:[0,1]
	v_pk_add_f16 v15, v15, v18 op_sel:[0,1] op_sel_hi:[1,0]
	v_cmp_gt_u32_e64 s[0:1], s0, v5
	s_barrier
	s_and_saveexec_b64 s[4:5], s[0:1]
	s_cbranch_execz .LBB0_15
; %bb.14:
	v_pk_mul_f16 v14, v14, s7 op_sel_hi:[1,0]
	v_pk_mul_f16 v16, v16, s8 op_sel_hi:[1,0]
	;; [unrolled: 1-line block ×3, first 2 shown]
	v_pk_add_f16 v10, v10, v16 neg_lo:[0,1] neg_hi:[0,1]
	v_pk_add_f16 v7, v7, v14 neg_lo:[0,1] neg_hi:[0,1]
	s_mov_b32 s6, 0xffff
	v_pk_add_f16 v10, v11, v10
	v_pk_add_f16 v7, v7, v8
	v_mad_u32_u24 v18, v5, 24, v0
	v_bfi_b32 v19, s6, v15, v12
	v_pk_add_f16 v8, v7, v10 op_sel:[0,1] op_sel_hi:[1,0] neg_lo:[0,1] neg_hi:[0,1]
	v_pk_add_f16 v7, v7, v10 op_sel:[0,1] op_sel_hi:[1,0]
	ds_write2_b32 v18, v6, v19 offset1:1
	v_alignbit_b32 v6, v9, v13, 16
	v_bfi_b32 v10, s6, v8, v7
	ds_write2_b32 v18, v6, v10 offset0:2 offset1:3
	v_bfi_b32 v6, s6, v7, v8
	v_alignbit_b32 v7, v13, v9, 16
	v_bfi_b32 v17, s6, v12, v15
	ds_write2_b32 v18, v6, v7 offset0:4 offset1:5
	ds_write_b32 v18, v17 offset:24
.LBB0_15:
	s_or_b64 exec, exec, s[4:5]
	v_mov_b32_e32 v6, 37
	v_mul_lo_u16_sdwa v6, v5, v6 dst_sel:DWORD dst_unused:UNUSED_PAD src0_sel:BYTE_0 src1_sel:DWORD
	v_sub_u16_sdwa v7, v5, v6 dst_sel:DWORD dst_unused:UNUSED_PAD src0_sel:DWORD src1_sel:BYTE_1
	v_lshrrev_b16_e32 v7, 1, v7
	v_and_b32_e32 v7, 0x7f, v7
	v_add_u16_sdwa v6, v7, v6 dst_sel:DWORD dst_unused:UNUSED_PAD src0_sel:DWORD src1_sel:BYTE_1
	v_lshrrev_b16_e32 v21, 2, v6
	v_mul_lo_u16_e32 v6, 7, v21
	v_sub_u16_e32 v8, v5, v6
	v_mov_b32_e32 v6, 4
	v_lshlrev_b32_sdwa v6, v6, v8 dst_sel:DWORD dst_unused:UNUSED_PAD src0_sel:DWORD src1_sel:BYTE_0
	s_load_dwordx2 s[2:3], s[2:3], 0x0
	s_waitcnt lgkmcnt(0)
	s_barrier
	global_load_dwordx4 v[16:19], v6, s[12:13]
	v_add_u32_e32 v10, 0x600, v0
	ds_read2_b32 v[6:7], v0 offset1:196
	ds_read_b32 v14, v0 offset:3136
	ds_read_u16 v22, v0 offset:2
	ds_read2_b32 v[10:11], v10 offset0:8 offset1:204
	v_mov_b32_e32 v20, 2
	s_waitcnt lgkmcnt(3)
	v_lshrrev_b32_e32 v24, 16, v7
	s_waitcnt lgkmcnt(2)
	v_lshrrev_b32_e32 v23, 16, v14
	v_lshlrev_b32_sdwa v27, v20, v8 dst_sel:DWORD dst_unused:UNUSED_PAD src0_sel:DWORD src1_sel:BYTE_0
	s_waitcnt lgkmcnt(0)
	v_lshrrev_b32_e32 v25, 16, v10
	v_lshrrev_b32_e32 v26, 16, v11
	s_movk_i32 s4, 0x3b9c
	s_mov_b32 s7, 0xbb9c
	s_movk_i32 s5, 0x38b4
	s_mov_b32 s8, 0xb8b4
	s_movk_i32 s6, 0x34f2
	s_waitcnt vmcnt(0)
	s_barrier
	v_lshrrev_b32_e32 v9, 16, v9
	v_mul_f16_sdwa v8, v17, v25 dst_sel:DWORD dst_unused:UNUSED_PAD src0_sel:WORD_1 src1_sel:DWORD
	v_mul_f16_sdwa v20, v17, v10 dst_sel:DWORD dst_unused:UNUSED_PAD src0_sel:WORD_1 src1_sel:DWORD
	;; [unrolled: 1-line block ×8, first 2 shown]
	v_fma_f16 v8, v17, v10, -v8
	v_fma_f16 v10, v18, v11, -v28
	v_fma_f16 v11, v17, v25, v20
	v_fma_f16 v17, v18, v26, v29
	v_fma_f16 v18, v19, v14, -v30
	v_fma_f16 v14, v19, v23, v31
	v_fma_f16 v19, v16, v24, v32
	v_fma_f16 v7, v16, v7, -v33
	v_sub_f16_e32 v20, v8, v7
	v_sub_f16_e32 v23, v10, v18
	v_add_f16_e32 v24, v7, v18
	v_add_f16_e32 v26, v8, v10
	;; [unrolled: 1-line block ×3, first 2 shown]
	v_sub_f16_e32 v29, v7, v8
	v_sub_f16_e32 v30, v18, v10
	v_add_f16_e32 v33, v22, v19
	v_add_f16_e32 v34, v11, v17
	v_sub_f16_e32 v16, v11, v17
	v_sub_f16_e32 v25, v19, v14
	;; [unrolled: 1-line block ×4, first 2 shown]
	v_add_f16_e32 v19, v19, v14
	v_fma_f16 v24, v24, -0.5, v6
	v_fma_f16 v6, v26, -0.5, v6
	v_sub_f16_e32 v26, v17, v14
	v_sub_f16_e32 v36, v8, v10
	;; [unrolled: 1-line block ×3, first 2 shown]
	v_add_f16_e32 v7, v20, v23
	v_add_f16_e32 v20, v29, v30
	;; [unrolled: 1-line block ×3, first 2 shown]
	v_fma_f16 v29, v34, -0.5, v22
	v_add_f16_e32 v8, v28, v8
	v_sub_f16_e32 v32, v14, v17
	v_fma_f16 v19, v19, -0.5, v22
	v_add_f16_e32 v22, v35, v26
	v_fma_f16 v26, v16, s7, v24
	v_fma_f16 v24, v16, s4, v24
	v_add_f16_e32 v8, v8, v10
	v_fma_f16 v10, v25, s4, v6
	v_fma_f16 v6, v25, s7, v6
	;; [unrolled: 3-line block ×4, first 2 shown]
	v_fma_f16 v25, v16, s5, v10
	v_fma_f16 v16, v16, s8, v6
	v_add_f16_e32 v6, v8, v18
	v_fma_f16 v8, v36, s8, v17
	v_fma_f16 v18, v36, s5, v28
	;; [unrolled: 1-line block ×5, first 2 shown]
	v_add_f16_e32 v14, v11, v14
	v_fma_f16 v11, v7, s6, v24
	v_fma_f16 v24, v36, s7, v19
	;; [unrolled: 1-line block ×9, first 2 shown]
	v_mul_u32_u24_e32 v16, 0x8c, v21
	v_add3_u32 v16, 0, v16, v27
	v_pack_b32_f16 v21, v6, v14
	v_pack_b32_f16 v22, v7, v17
	ds_write2_b32 v16, v21, v22 offset1:7
	v_pack_b32_f16 v21, v10, v19
	v_pack_b32_f16 v22, v11, v20
	ds_write2_b32 v16, v21, v22 offset0:14 offset1:21
	v_pack_b32_f16 v21, v8, v18
	ds_write_b32 v16, v21 offset:112
	v_lshrrev_b32_e32 v21, 16, v15
	s_waitcnt lgkmcnt(0)
	s_barrier
	s_and_saveexec_b64 s[4:5], s[0:1]
	s_cbranch_execz .LBB0_17
; %bb.16:
	v_add_u32_e32 v8, 0x400, v0
	v_add_u32_e32 v9, 0x800, v0
	ds_read2_b32 v[6:7], v0 offset1:140
	ds_read2_b32 v[10:11], v8 offset0:24 offset1:164
	ds_read2_b32 v[8:9], v9 offset0:48 offset1:188
	ds_read_b32 v12, v0 offset:3360
	s_waitcnt lgkmcnt(3)
	v_lshrrev_b32_e32 v14, 16, v6
	v_lshrrev_b32_e32 v17, 16, v7
	s_waitcnt lgkmcnt(2)
	v_lshrrev_b32_e32 v19, 16, v10
	v_lshrrev_b32_e32 v20, 16, v11
	;; [unrolled: 3-line block ×3, first 2 shown]
	s_waitcnt lgkmcnt(0)
	v_lshrrev_b32_e32 v21, 16, v12
.LBB0_17:
	s_or_b64 exec, exec, s[4:5]
	s_movk_i32 s4, 0xeb
	v_mul_lo_u16_sdwa v15, v5, s4 dst_sel:DWORD dst_unused:UNUSED_PAD src0_sel:BYTE_0 src1_sel:DWORD
	v_lshrrev_b16_e32 v15, 13, v15
	v_mul_lo_u16_e32 v16, 35, v15
	v_sub_u16_e32 v16, v5, v16
	v_mov_b32_e32 v22, 6
	v_mul_u32_u24_sdwa v22, v16, v22 dst_sel:DWORD dst_unused:UNUSED_PAD src0_sel:BYTE_0 src1_sel:DWORD
	v_lshlrev_b32_e32 v28, 2, v22
	global_load_dwordx4 v[22:25], v28, s[12:13] offset:112
	global_load_dwordx2 v[26:27], v28, s[12:13] offset:128
	s_movk_i32 s8, 0x2b26
	s_mov_b32 s4, 0xbcab
	s_movk_i32 s9, 0x39e0
	s_mov_b32 s7, 0xb9e0
	s_movk_i32 s5, 0x3b00
	s_movk_i32 s6, 0x3574
	s_waitcnt vmcnt(0)
	s_barrier
	v_mul_f16_sdwa v28, v17, v22 dst_sel:DWORD dst_unused:UNUSED_PAD src0_sel:DWORD src1_sel:WORD_1
	v_mul_f16_sdwa v29, v19, v23 dst_sel:DWORD dst_unused:UNUSED_PAD src0_sel:DWORD src1_sel:WORD_1
	;; [unrolled: 1-line block ×12, first 2 shown]
	v_fma_f16 v10, v10, v23, -v29
	v_fma_f16 v17, v17, v22, v33
	v_fma_f16 v19, v19, v23, v30
	v_fma_f16 v7, v7, v22, -v28
	v_fma_f16 v9, v9, v26, -v36
	v_fma_f16 v13, v13, v26, v37
	v_fma_f16 v12, v12, v27, -v38
	v_fma_f16 v21, v21, v27, v39
	;; [unrolled: 2-line block ×3, first 2 shown]
	v_fma_f16 v18, v18, v25, v35
	v_fma_f16 v8, v8, v25, -v34
	v_add_f16_e32 v22, v7, v12
	v_add_f16_e32 v23, v17, v21
	v_sub_f16_e32 v7, v7, v12
	v_sub_f16_e32 v12, v17, v21
	v_add_f16_e32 v17, v10, v9
	v_add_f16_e32 v21, v19, v13
	v_sub_f16_e32 v9, v10, v9
	v_sub_f16_e32 v10, v19, v13
	;; [unrolled: 4-line block ×4, first 2 shown]
	v_sub_f16_e32 v22, v22, v13
	v_sub_f16_e32 v23, v23, v19
	;; [unrolled: 1-line block ×4, first 2 shown]
	v_add_f16_e32 v27, v11, v10
	v_add_f16_e32 v13, v13, v18
	;; [unrolled: 1-line block ×4, first 2 shown]
	v_sub_f16_e32 v28, v8, v9
	v_sub_f16_e32 v29, v11, v10
	;; [unrolled: 1-line block ×5, first 2 shown]
	v_add_f16_e32 v27, v27, v12
	v_mul_f16_e32 v12, 0x3a52, v22
	v_mul_f16_e32 v19, 0x3a52, v23
	;; [unrolled: 1-line block ×4, first 2 shown]
	v_add_f16_e32 v9, v6, v13
	v_add_f16_e32 v10, v14, v18
	v_sub_f16_e32 v8, v7, v8
	v_add_f16_e32 v7, v26, v7
	v_mul_f16_e32 v23, 0xb846, v28
	v_mul_f16_e32 v26, 0xb846, v29
	;; [unrolled: 1-line block ×4, first 2 shown]
	v_fma_f16 v6, v17, s8, v12
	v_fma_f16 v14, v21, s8, v19
	v_fma_f16 v17, v24, s9, -v20
	v_fma_f16 v20, v25, s9, -v22
	;; [unrolled: 1-line block ×3, first 2 shown]
	v_fma_f16 v19, v13, s4, v9
	v_fma_f16 v18, v18, s4, v10
	s_mov_b32 s4, 0xb574
	v_fma_f16 v21, v24, s7, -v12
	v_fma_f16 v24, v8, s6, v23
	v_fma_f16 v25, v11, s6, v26
	v_fma_f16 v30, v30, s5, -v23
	v_fma_f16 v26, v31, s5, -v26
	;; [unrolled: 1-line block ×4, first 2 shown]
	s_movk_i32 s4, 0x370e
	v_add_f16_e32 v11, v6, v19
	v_add_f16_e32 v12, v14, v18
	;; [unrolled: 1-line block ×6, first 2 shown]
	v_fma_f16 v22, v7, s4, v24
	v_fma_f16 v23, v27, s4, v25
	;; [unrolled: 1-line block ×6, first 2 shown]
	v_add_f16_e32 v6, v25, v13
	v_sub_f16_e32 v14, v20, v24
	v_sub_f16_e32 v7, v19, v27
	v_add_f16_e32 v17, v26, v21
	v_sub_f16_e32 v8, v11, v23
	v_add_f16_e32 v18, v22, v12
	s_and_saveexec_b64 s[4:5], s[0:1]
	s_cbranch_execz .LBB0_19
; %bb.18:
	v_sub_f16_e32 v12, v12, v22
	v_mov_b32_e32 v22, 2
	v_add_f16_e32 v11, v23, v11
	v_mul_u32_u24_e32 v15, 0x3d4, v15
	v_lshlrev_b32_sdwa v16, v22, v16 dst_sel:DWORD dst_unused:UNUSED_PAD src0_sel:DWORD src1_sel:BYTE_0
	s_mov_b32 s0, 0x5040100
	v_add_f16_e32 v20, v24, v20
	v_sub_f16_e32 v13, v13, v25
	v_sub_f16_e32 v21, v21, v26
	v_add_f16_e32 v19, v27, v19
	v_add3_u32 v15, 0, v15, v16
	v_perm_b32 v9, v10, v9, s0
	v_pack_b32_f16 v10, v11, v12
	ds_write2_b32 v15, v9, v10 offset1:35
	v_pack_b32_f16 v9, v19, v21
	v_pack_b32_f16 v10, v13, v20
	ds_write2_b32 v15, v9, v10 offset0:70 offset1:105
	v_perm_b32 v9, v14, v6, s0
	v_perm_b32 v10, v17, v7, s0
	ds_write2_b32 v15, v9, v10 offset0:140 offset1:175
	v_perm_b32 v9, v18, v8, s0
	ds_write_b32 v15, v9 offset:840
.LBB0_19:
	s_or_b64 exec, exec, s[4:5]
	v_add_u32_e32 v16, 0x780, v0
	s_waitcnt lgkmcnt(0)
	s_barrier
	ds_read2_b32 v[10:11], v0 offset1:245
	ds_read2_b32 v[12:13], v16 offset0:10 offset1:255
	v_cmp_gt_u32_e64 s[0:1], 49, v5
                                        ; implicit-def: $vgpr15
	s_and_saveexec_b64 s[4:5], s[0:1]
	s_cbranch_execz .LBB0_21
; %bb.20:
	v_add_u32_e32 v6, 0x300, v0
	v_add_u32_e32 v8, 0xaa0, v0
	ds_read2_b32 v[6:7], v6 offset0:4 offset1:249
	ds_read2_b32 v[8:9], v8 offset0:6 offset1:251
	s_waitcnt lgkmcnt(1)
	v_lshrrev_b32_e32 v14, 16, v6
	v_lshrrev_b32_e32 v17, 16, v7
	s_waitcnt lgkmcnt(0)
	v_lshrrev_b32_e32 v18, 16, v8
	v_lshrrev_b32_e32 v15, 16, v9
.LBB0_21:
	s_or_b64 exec, exec, s[4:5]
	v_mul_u32_u24_e32 v19, 3, v5
	v_lshlrev_b32_e32 v19, 2, v19
	global_load_dwordx3 v[19:21], v19, s[12:13] offset:952
	s_waitcnt lgkmcnt(0)
	v_lshrrev_b32_e32 v23, 16, v13
	v_lshrrev_b32_e32 v24, 16, v12
	;; [unrolled: 1-line block ×4, first 2 shown]
	s_waitcnt vmcnt(0)
	s_barrier
	v_mul_f16_sdwa v26, v19, v25 dst_sel:DWORD dst_unused:UNUSED_PAD src0_sel:WORD_1 src1_sel:DWORD
	v_mul_f16_sdwa v27, v19, v11 dst_sel:DWORD dst_unused:UNUSED_PAD src0_sel:WORD_1 src1_sel:DWORD
	;; [unrolled: 1-line block ×6, first 2 shown]
	v_fma_f16 v11, v19, v11, -v26
	v_fma_f16 v19, v19, v25, v27
	v_fma_f16 v12, v20, v12, -v28
	v_fma_f16 v20, v20, v24, v29
	;; [unrolled: 2-line block ×3, first 2 shown]
	v_sub_f16_e32 v12, v10, v12
	v_sub_f16_e32 v20, v22, v20
	;; [unrolled: 1-line block ×4, first 2 shown]
	v_fma_f16 v10, v10, 2.0, -v12
	v_fma_f16 v22, v22, 2.0, -v20
	;; [unrolled: 1-line block ×4, first 2 shown]
	v_sub_f16_e32 v21, v12, v21
	v_add_f16_e32 v13, v20, v13
	v_sub_f16_e32 v11, v10, v11
	v_sub_f16_e32 v19, v22, v19
	v_fma_f16 v12, v12, 2.0, -v21
	v_fma_f16 v20, v20, 2.0, -v13
	v_pack_b32_f16 v13, v21, v13
	v_fma_f16 v10, v10, 2.0, -v11
	v_fma_f16 v21, v22, 2.0, -v19
	v_pack_b32_f16 v12, v12, v20
	v_pack_b32_f16 v10, v10, v21
	;; [unrolled: 1-line block ×3, first 2 shown]
	ds_write2_b32 v0, v10, v12 offset1:245
	ds_write2_b32 v16, v11, v13 offset0:10 offset1:255
	s_and_saveexec_b64 s[4:5], s[0:1]
	s_cbranch_execz .LBB0_23
; %bb.22:
	v_add_u32_e32 v10, 0xc4, v5
	v_subrev_u32_e32 v11, 49, v5
	v_cndmask_b32_e64 v10, v11, v10, s[0:1]
	v_mul_i32_i24_e32 v10, 3, v10
	v_mov_b32_e32 v11, 0
	v_lshlrev_b64 v[10:11], 2, v[10:11]
	v_mov_b32_e32 v12, s13
	v_add_co_u32_e64 v10, s[0:1], s12, v10
	v_addc_co_u32_e64 v11, s[0:1], v12, v11, s[0:1]
	global_load_dwordx3 v[10:12], v[10:11], off offset:952
	v_add_u32_e32 v13, 0x300, v0
	v_add_u32_e32 v0, 0xaa0, v0
	s_waitcnt vmcnt(0)
	v_mul_f16_sdwa v16, v18, v11 dst_sel:DWORD dst_unused:UNUSED_PAD src0_sel:DWORD src1_sel:WORD_1
	v_mul_f16_sdwa v19, v7, v10 dst_sel:DWORD dst_unused:UNUSED_PAD src0_sel:DWORD src1_sel:WORD_1
	;; [unrolled: 1-line block ×6, first 2 shown]
	v_fma_f16 v8, v8, v11, -v16
	v_fma_f16 v16, v17, v10, v19
	v_fma_f16 v15, v15, v12, v20
	;; [unrolled: 1-line block ×3, first 2 shown]
	v_fma_f16 v7, v7, v10, -v22
	v_fma_f16 v9, v9, v12, -v23
	v_sub_f16_e32 v8, v6, v8
	v_sub_f16_e32 v10, v16, v15
	;; [unrolled: 1-line block ×5, first 2 shown]
	v_add_f16_e32 v15, v11, v9
	v_fma_f16 v6, v6, 2.0, -v8
	v_fma_f16 v7, v7, 2.0, -v9
	;; [unrolled: 1-line block ×4, first 2 shown]
	v_sub_f16_e32 v7, v6, v7
	v_sub_f16_e32 v10, v9, v10
	v_fma_f16 v8, v8, 2.0, -v12
	v_fma_f16 v11, v11, 2.0, -v15
	;; [unrolled: 1-line block ×4, first 2 shown]
	v_pack_b32_f16 v8, v8, v11
	v_pack_b32_f16 v6, v6, v9
	;; [unrolled: 1-line block ×4, first 2 shown]
	ds_write2_b32 v13, v6, v8 offset0:4 offset1:249
	ds_write2_b32 v0, v7, v12 offset0:6 offset1:251
.LBB0_23:
	s_or_b64 exec, exec, s[4:5]
	s_waitcnt lgkmcnt(0)
	s_barrier
	s_and_saveexec_b64 s[0:1], vcc
	s_cbranch_execz .LBB0_25
; %bb.24:
	v_mul_lo_u32 v0, s3, v3
	v_mul_lo_u32 v6, s2, v4
	v_mad_u64_u32 v[3:4], s[0:1], s2, v3, 0
	v_lshl_add_u32 v9, v5, 2, 0
	ds_read2_b32 v[7:8], v9 offset1:196
	v_add3_u32 v4, v4, v6, v0
	v_lshlrev_b64 v[3:4], 2, v[3:4]
	v_mov_b32_e32 v0, s11
	v_add_co_u32_e32 v3, vcc, s10, v3
	v_addc_co_u32_e32 v4, vcc, v0, v4, vcc
	v_lshlrev_b64 v[0:1], 2, v[1:2]
	v_mov_b32_e32 v6, 0
	v_add_co_u32_e32 v10, vcc, v3, v0
	v_addc_co_u32_e32 v4, vcc, v4, v1, vcc
	v_lshlrev_b64 v[0:1], 2, v[5:6]
	v_add_u32_e32 v2, 0x600, v9
	v_add_co_u32_e32 v0, vcc, v10, v0
	v_addc_co_u32_e32 v1, vcc, v4, v1, vcc
	s_waitcnt lgkmcnt(0)
	global_store_dword v[0:1], v7, off
	v_add_u32_e32 v0, 0xc4, v5
	v_mov_b32_e32 v1, v6
	v_lshlrev_b64 v[0:1], 2, v[0:1]
	ds_read2_b32 v[2:3], v2 offset0:8 offset1:204
	v_add_co_u32_e32 v0, vcc, v10, v0
	v_addc_co_u32_e32 v1, vcc, v4, v1, vcc
	global_store_dword v[0:1], v8, off
	v_add_u32_e32 v0, 0x188, v5
	v_mov_b32_e32 v1, v6
	v_lshlrev_b64 v[0:1], 2, v[0:1]
	v_add_co_u32_e32 v0, vcc, v10, v0
	v_addc_co_u32_e32 v1, vcc, v4, v1, vcc
	s_waitcnt lgkmcnt(0)
	global_store_dword v[0:1], v2, off
	v_add_u32_e32 v0, 0x24c, v5
	v_mov_b32_e32 v1, v6
	v_lshlrev_b64 v[0:1], 2, v[0:1]
	v_add_u32_e32 v5, 0x310, v5
	v_add_co_u32_e32 v0, vcc, v10, v0
	v_addc_co_u32_e32 v1, vcc, v4, v1, vcc
	ds_read_b32 v2, v9 offset:3136
	global_store_dword v[0:1], v3, off
	v_lshlrev_b64 v[0:1], 2, v[5:6]
	v_add_co_u32_e32 v0, vcc, v10, v0
	v_addc_co_u32_e32 v1, vcc, v4, v1, vcc
	s_waitcnt lgkmcnt(0)
	global_store_dword v[0:1], v2, off
.LBB0_25:
	s_endpgm
	.section	.rodata,"a",@progbits
	.p2align	6, 0x0
	.amdhsa_kernel fft_rtc_fwd_len980_factors_7_5_7_4_wgs_196_tpt_196_half_op_CI_CI_unitstride_sbrr_dirReg
		.amdhsa_group_segment_fixed_size 0
		.amdhsa_private_segment_fixed_size 0
		.amdhsa_kernarg_size 104
		.amdhsa_user_sgpr_count 6
		.amdhsa_user_sgpr_private_segment_buffer 1
		.amdhsa_user_sgpr_dispatch_ptr 0
		.amdhsa_user_sgpr_queue_ptr 0
		.amdhsa_user_sgpr_kernarg_segment_ptr 1
		.amdhsa_user_sgpr_dispatch_id 0
		.amdhsa_user_sgpr_flat_scratch_init 0
		.amdhsa_user_sgpr_private_segment_size 0
		.amdhsa_uses_dynamic_stack 0
		.amdhsa_system_sgpr_private_segment_wavefront_offset 0
		.amdhsa_system_sgpr_workgroup_id_x 1
		.amdhsa_system_sgpr_workgroup_id_y 0
		.amdhsa_system_sgpr_workgroup_id_z 0
		.amdhsa_system_sgpr_workgroup_info 0
		.amdhsa_system_vgpr_workitem_id 0
		.amdhsa_next_free_vgpr 40
		.amdhsa_next_free_sgpr 28
		.amdhsa_reserve_vcc 1
		.amdhsa_reserve_flat_scratch 0
		.amdhsa_float_round_mode_32 0
		.amdhsa_float_round_mode_16_64 0
		.amdhsa_float_denorm_mode_32 3
		.amdhsa_float_denorm_mode_16_64 3
		.amdhsa_dx10_clamp 1
		.amdhsa_ieee_mode 1
		.amdhsa_fp16_overflow 0
		.amdhsa_exception_fp_ieee_invalid_op 0
		.amdhsa_exception_fp_denorm_src 0
		.amdhsa_exception_fp_ieee_div_zero 0
		.amdhsa_exception_fp_ieee_overflow 0
		.amdhsa_exception_fp_ieee_underflow 0
		.amdhsa_exception_fp_ieee_inexact 0
		.amdhsa_exception_int_div_zero 0
	.end_amdhsa_kernel
	.text
.Lfunc_end0:
	.size	fft_rtc_fwd_len980_factors_7_5_7_4_wgs_196_tpt_196_half_op_CI_CI_unitstride_sbrr_dirReg, .Lfunc_end0-fft_rtc_fwd_len980_factors_7_5_7_4_wgs_196_tpt_196_half_op_CI_CI_unitstride_sbrr_dirReg
                                        ; -- End function
	.section	.AMDGPU.csdata,"",@progbits
; Kernel info:
; codeLenInByte = 4760
; NumSgprs: 32
; NumVgprs: 40
; ScratchSize: 0
; MemoryBound: 0
; FloatMode: 240
; IeeeMode: 1
; LDSByteSize: 0 bytes/workgroup (compile time only)
; SGPRBlocks: 3
; VGPRBlocks: 9
; NumSGPRsForWavesPerEU: 32
; NumVGPRsForWavesPerEU: 40
; Occupancy: 6
; WaveLimiterHint : 1
; COMPUTE_PGM_RSRC2:SCRATCH_EN: 0
; COMPUTE_PGM_RSRC2:USER_SGPR: 6
; COMPUTE_PGM_RSRC2:TRAP_HANDLER: 0
; COMPUTE_PGM_RSRC2:TGID_X_EN: 1
; COMPUTE_PGM_RSRC2:TGID_Y_EN: 0
; COMPUTE_PGM_RSRC2:TGID_Z_EN: 0
; COMPUTE_PGM_RSRC2:TIDIG_COMP_CNT: 0
	.type	__hip_cuid_e4320f5c595fb6ca,@object ; @__hip_cuid_e4320f5c595fb6ca
	.section	.bss,"aw",@nobits
	.globl	__hip_cuid_e4320f5c595fb6ca
__hip_cuid_e4320f5c595fb6ca:
	.byte	0                               ; 0x0
	.size	__hip_cuid_e4320f5c595fb6ca, 1

	.ident	"AMD clang version 19.0.0git (https://github.com/RadeonOpenCompute/llvm-project roc-6.4.0 25133 c7fe45cf4b819c5991fe208aaa96edf142730f1d)"
	.section	".note.GNU-stack","",@progbits
	.addrsig
	.addrsig_sym __hip_cuid_e4320f5c595fb6ca
	.amdgpu_metadata
---
amdhsa.kernels:
  - .args:
      - .actual_access:  read_only
        .address_space:  global
        .offset:         0
        .size:           8
        .value_kind:     global_buffer
      - .offset:         8
        .size:           8
        .value_kind:     by_value
      - .actual_access:  read_only
        .address_space:  global
        .offset:         16
        .size:           8
        .value_kind:     global_buffer
      - .actual_access:  read_only
        .address_space:  global
        .offset:         24
        .size:           8
        .value_kind:     global_buffer
      - .actual_access:  read_only
        .address_space:  global
        .offset:         32
        .size:           8
        .value_kind:     global_buffer
      - .offset:         40
        .size:           8
        .value_kind:     by_value
      - .actual_access:  read_only
        .address_space:  global
        .offset:         48
        .size:           8
        .value_kind:     global_buffer
      - .actual_access:  read_only
        .address_space:  global
        .offset:         56
        .size:           8
        .value_kind:     global_buffer
      - .offset:         64
        .size:           4
        .value_kind:     by_value
      - .actual_access:  read_only
        .address_space:  global
        .offset:         72
        .size:           8
        .value_kind:     global_buffer
      - .actual_access:  read_only
        .address_space:  global
        .offset:         80
        .size:           8
        .value_kind:     global_buffer
      - .actual_access:  read_only
        .address_space:  global
        .offset:         88
        .size:           8
        .value_kind:     global_buffer
      - .actual_access:  write_only
        .address_space:  global
        .offset:         96
        .size:           8
        .value_kind:     global_buffer
    .group_segment_fixed_size: 0
    .kernarg_segment_align: 8
    .kernarg_segment_size: 104
    .language:       OpenCL C
    .language_version:
      - 2
      - 0
    .max_flat_workgroup_size: 196
    .name:           fft_rtc_fwd_len980_factors_7_5_7_4_wgs_196_tpt_196_half_op_CI_CI_unitstride_sbrr_dirReg
    .private_segment_fixed_size: 0
    .sgpr_count:     32
    .sgpr_spill_count: 0
    .symbol:         fft_rtc_fwd_len980_factors_7_5_7_4_wgs_196_tpt_196_half_op_CI_CI_unitstride_sbrr_dirReg.kd
    .uniform_work_group_size: 1
    .uses_dynamic_stack: false
    .vgpr_count:     40
    .vgpr_spill_count: 0
    .wavefront_size: 64
amdhsa.target:   amdgcn-amd-amdhsa--gfx906
amdhsa.version:
  - 1
  - 2
...

	.end_amdgpu_metadata
